;; amdgpu-corpus repo=ROCm/rocFFT kind=compiled arch=gfx906 opt=O3
	.text
	.amdgcn_target "amdgcn-amd-amdhsa--gfx906"
	.amdhsa_code_object_version 6
	.protected	fft_rtc_fwd_len100_factors_5_5_4_wgs_100_tpt_25_sp_op_CI_CI_sbrc_unaligned_dirReg ; -- Begin function fft_rtc_fwd_len100_factors_5_5_4_wgs_100_tpt_25_sp_op_CI_CI_sbrc_unaligned_dirReg
	.globl	fft_rtc_fwd_len100_factors_5_5_4_wgs_100_tpt_25_sp_op_CI_CI_sbrc_unaligned_dirReg
	.p2align	8
	.type	fft_rtc_fwd_len100_factors_5_5_4_wgs_100_tpt_25_sp_op_CI_CI_sbrc_unaligned_dirReg,@function
fft_rtc_fwd_len100_factors_5_5_4_wgs_100_tpt_25_sp_op_CI_CI_sbrc_unaligned_dirReg: ; @fft_rtc_fwd_len100_factors_5_5_4_wgs_100_tpt_25_sp_op_CI_CI_sbrc_unaligned_dirReg
; %bb.0:
	s_load_dwordx8 s[8:15], s[4:5], 0x0
	s_mov_b32 s30, 0
	s_mov_b64 s[34:35], 2
	s_mov_b32 s40, s30
	s_waitcnt lgkmcnt(0)
	s_load_dword s33, s[12:13], 0x8
	s_load_dwordx4 s[20:23], s[4:5], 0x58
	s_load_dwordx2 s[28:29], s[4:5], 0x20
	s_load_dwordx4 s[24:27], s[14:15], 0x0
	s_waitcnt lgkmcnt(0)
	s_add_i32 s0, s33, -1
	s_lshr_b32 s0, s0, 2
	s_add_i32 s7, s0, 1
	v_cvt_f32_u32_e32 v1, s7
	s_sub_i32 s2, 0, s7
	s_load_dwordx4 s[16:19], s[28:29], 0x0
	v_cmp_gt_u64_e64 s[0:1], s[10:11], 2
	v_rcp_iflag_f32_e32 v1, v1
	v_mul_f32_e32 v1, 0x4f7ffffe, v1
	v_cvt_u32_f32_e32 v1, v1
	v_readfirstlane_b32 s3, v1
	s_mul_i32 s2, s2, s3
	s_mul_hi_u32 s2, s3, s2
	s_add_i32 s3, s3, s2
	s_mul_hi_u32 s2, s6, s3
	s_mul_i32 s3, s2, s7
	s_sub_i32 s3, s6, s3
	s_add_i32 s4, s2, 1
	s_sub_i32 s5, s3, s7
	s_cmp_ge_u32 s3, s7
	s_cselect_b32 s2, s4, s2
	s_cselect_b32 s3, s5, s3
	s_add_i32 s4, s2, 1
	s_cmp_ge_u32 s3, s7
	s_cselect_b32 s27, s4, s2
	s_and_b64 vcc, exec, s[0:1]
	s_mul_i32 s0, s27, s7
	s_sub_i32 s0, s6, s0
	s_waitcnt lgkmcnt(0)
	s_lshl_b32 s19, s0, 2
	s_mul_i32 s0, s17, s19
	s_mul_hi_u32 s1, s16, s19
	s_mul_i32 s41, s19, s26
	s_mul_i32 s2, s16, s19
	s_add_i32 s3, s1, s0
	s_cbranch_vccz .LBB0_9
; %bb.1:
	v_mov_b32_e32 v1, s10
	s_mov_b32 s4, 3
	v_mov_b32_e32 v2, s11
.LBB0_2:                                ; =>This Inner Loop Header: Depth=1
	s_lshl_b64 s[34:35], s[34:35], 3
	s_add_u32 s0, s12, s34
	s_addc_u32 s1, s13, s35
	s_load_dwordx2 s[36:37], s[0:1], 0x0
	s_waitcnt lgkmcnt(0)
	s_mov_b32 s31, s37
	s_cmp_lg_u64 s[30:31], 0
	s_cbranch_scc0 .LBB0_7
; %bb.3:                                ;   in Loop: Header=BB0_2 Depth=1
	v_cvt_f32_u32_e32 v3, s36
	v_cvt_f32_u32_e32 v4, s37
	s_sub_u32 s0, 0, s36
	s_subb_u32 s1, 0, s37
	v_mac_f32_e32 v3, 0x4f800000, v4
	v_rcp_f32_e32 v3, v3
	v_mul_f32_e32 v3, 0x5f7ffffc, v3
	v_mul_f32_e32 v4, 0x2f800000, v3
	v_trunc_f32_e32 v4, v4
	v_mac_f32_e32 v3, 0xcf800000, v4
	v_cvt_u32_f32_e32 v4, v4
	v_cvt_u32_f32_e32 v3, v3
	v_readfirstlane_b32 s5, v4
	v_readfirstlane_b32 s31, v3
	s_mul_i32 s38, s0, s5
	s_mul_hi_u32 s42, s0, s31
	s_mul_i32 s39, s1, s31
	s_add_i32 s38, s42, s38
	s_mul_i32 s43, s0, s31
	s_add_i32 s38, s38, s39
	s_mul_hi_u32 s39, s31, s38
	s_mul_i32 s42, s31, s38
	s_mul_hi_u32 s31, s31, s43
	s_add_u32 s31, s31, s42
	s_addc_u32 s39, 0, s39
	s_mul_hi_u32 s44, s5, s43
	s_mul_i32 s43, s5, s43
	s_add_u32 s31, s31, s43
	s_mul_hi_u32 s42, s5, s38
	s_addc_u32 s31, s39, s44
	s_addc_u32 s39, s42, 0
	s_mul_i32 s38, s5, s38
	s_add_u32 s31, s31, s38
	s_addc_u32 s38, 0, s39
	v_add_co_u32_e32 v3, vcc, s31, v3
	s_cmp_lg_u64 vcc, 0
	s_addc_u32 s5, s5, s38
	v_readfirstlane_b32 s38, v3
	s_mul_i32 s31, s0, s5
	s_mul_hi_u32 s39, s0, s38
	s_add_i32 s31, s39, s31
	s_mul_i32 s1, s1, s38
	s_add_i32 s31, s31, s1
	s_mul_i32 s0, s0, s38
	s_mul_hi_u32 s39, s5, s0
	s_mul_i32 s42, s5, s0
	s_mul_i32 s44, s38, s31
	s_mul_hi_u32 s0, s38, s0
	s_mul_hi_u32 s43, s38, s31
	s_add_u32 s0, s0, s44
	s_addc_u32 s38, 0, s43
	s_add_u32 s0, s0, s42
	s_mul_hi_u32 s1, s5, s31
	s_addc_u32 s0, s38, s39
	s_addc_u32 s1, s1, 0
	s_mul_i32 s31, s5, s31
	s_add_u32 s0, s0, s31
	s_addc_u32 s1, 0, s1
	v_add_co_u32_e32 v3, vcc, s0, v3
	s_cmp_lg_u64 vcc, 0
	s_addc_u32 s0, s5, s1
	v_readfirstlane_b32 s5, v3
	s_mul_hi_u32 s1, s27, s0
	s_mul_i32 s0, s27, s0
	s_mul_hi_u32 s5, s27, s5
	s_add_u32 s0, s5, s0
	s_addc_u32 s5, 0, s1
	s_mul_i32 s0, s37, s5
	s_mul_hi_u32 s1, s36, s5
	s_add_i32 s31, s1, s0
	s_mul_i32 s1, s36, s5
	v_mov_b32_e32 v3, s1
	s_sub_i32 s0, 0, s31
	v_sub_co_u32_e32 v3, vcc, s27, v3
	s_cmp_lg_u64 vcc, 0
	s_subb_u32 s38, s0, s37
	v_subrev_co_u32_e64 v4, s[0:1], s36, v3
	s_cmp_lg_u64 s[0:1], 0
	s_subb_u32 s0, s38, 0
	s_cmp_ge_u32 s0, s37
	v_readfirstlane_b32 s38, v4
	s_cselect_b32 s1, -1, 0
	s_cmp_ge_u32 s38, s36
	s_cselect_b32 s38, -1, 0
	s_cmp_eq_u32 s0, s37
	s_cselect_b32 s0, s38, s1
	s_add_u32 s1, s5, 1
	s_addc_u32 s38, 0, 0
	s_add_u32 s39, s5, 2
	s_addc_u32 s42, 0, 0
	s_cmp_lg_u32 s0, 0
	s_cselect_b32 s0, s39, s1
	s_cselect_b32 s1, s42, s38
	s_cmp_lg_u64 vcc, 0
	s_subb_u32 s31, 0, s31
	s_cmp_ge_u32 s31, s37
	v_readfirstlane_b32 s39, v3
	s_cselect_b32 s38, -1, 0
	s_cmp_ge_u32 s39, s36
	s_cselect_b32 s39, -1, 0
	s_cmp_eq_u32 s31, s37
	s_cselect_b32 s31, s39, s38
	s_cmp_lg_u32 s31, 0
	s_cselect_b32 s1, s1, 0
	s_cselect_b32 s0, s0, s5
	s_cbranch_execnz .LBB0_5
.LBB0_4:                                ;   in Loop: Header=BB0_2 Depth=1
	v_cvt_f32_u32_e32 v3, s36
	s_sub_i32 s0, 0, s36
	v_rcp_iflag_f32_e32 v3, v3
	v_mul_f32_e32 v3, 0x4f7ffffe, v3
	v_cvt_u32_f32_e32 v3, v3
	v_readfirstlane_b32 s1, v3
	s_mul_i32 s0, s0, s1
	s_mul_hi_u32 s0, s1, s0
	s_add_i32 s1, s1, s0
	s_mul_hi_u32 s0, s27, s1
	s_mul_i32 s5, s0, s36
	s_sub_i32 s5, s27, s5
	s_add_i32 s1, s0, 1
	s_sub_i32 s31, s5, s36
	s_cmp_ge_u32 s5, s36
	s_cselect_b32 s0, s1, s0
	s_cselect_b32 s5, s31, s5
	s_add_i32 s1, s0, 1
	s_cmp_ge_u32 s5, s36
	s_cselect_b32 s0, s1, s0
	s_mov_b32 s1, s30
.LBB0_5:                                ;   in Loop: Header=BB0_2 Depth=1
	s_mul_i32 s5, s0, s37
	s_mul_hi_u32 s31, s0, s36
	s_add_i32 s5, s31, s5
	s_mul_i32 s1, s1, s36
	s_add_i32 s5, s5, s1
	s_mul_i32 s1, s0, s36
	s_sub_u32 s1, s27, s1
	s_subb_u32 s5, 0, s5
	s_add_u32 s38, s14, s34
	s_addc_u32 s39, s15, s35
	s_load_dwordx2 s[38:39], s[38:39], 0x0
	s_mul_i32 s7, s7, s36
	s_waitcnt lgkmcnt(0)
	s_mul_i32 s27, s38, s5
	s_mul_hi_u32 s31, s38, s1
	s_add_i32 s27, s31, s27
	s_mul_i32 s31, s39, s1
	s_add_i32 s27, s27, s31
	s_mul_i32 s31, s38, s1
	s_add_u32 s41, s31, s41
	s_addc_u32 s40, s27, s40
	s_add_u32 s34, s28, s34
	s_addc_u32 s35, s29, s35
	s_load_dwordx2 s[34:35], s[34:35], 0x0
	s_waitcnt lgkmcnt(0)
	s_mul_i32 s5, s34, s5
	s_mul_hi_u32 s27, s34, s1
	s_add_i32 s5, s27, s5
	s_mul_i32 s27, s35, s1
	s_add_i32 s5, s5, s27
	s_mul_i32 s1, s34, s1
	s_add_u32 s2, s1, s2
	s_addc_u32 s3, s5, s3
	s_mov_b32 s5, s30
	v_cmp_ge_u64_e32 vcc, s[4:5], v[1:2]
	s_mov_b64 s[34:35], s[4:5]
	s_add_i32 s4, s4, 1
	s_cbranch_vccnz .LBB0_8
; %bb.6:                                ;   in Loop: Header=BB0_2 Depth=1
	s_mov_b32 s27, s0
	s_branch .LBB0_2
.LBB0_7:                                ;   in Loop: Header=BB0_2 Depth=1
                                        ; implicit-def: $sgpr0_sgpr1
	s_branch .LBB0_4
.LBB0_8:
	v_cvt_f32_u32_e32 v1, s7
	s_sub_i32 s0, 0, s7
	v_rcp_iflag_f32_e32 v1, v1
	v_mul_f32_e32 v1, 0x4f7ffffe, v1
	v_cvt_u32_f32_e32 v1, v1
	v_readfirstlane_b32 s1, v1
	s_mul_i32 s0, s0, s1
	s_mul_hi_u32 s0, s1, s0
	s_add_i32 s1, s1, s0
	s_mul_hi_u32 s0, s6, s1
	s_mul_i32 s1, s0, s7
	s_sub_i32 s1, s6, s1
	s_add_i32 s4, s0, 1
	s_sub_i32 s5, s1, s7
	s_cmp_ge_u32 s1, s7
	s_cselect_b32 s0, s4, s0
	s_cselect_b32 s1, s5, s1
	s_add_i32 s4, s0, 1
	s_cmp_ge_u32 s1, s7
	s_cselect_b32 s27, s4, s0
.LBB0_9:
	s_lshl_b64 s[0:1], s[10:11], 3
	s_add_u32 s4, s14, s0
	s_addc_u32 s5, s15, s1
	s_load_dwordx2 s[4:5], s[4:5], 0x0
	v_mul_u32_u24_e32 v1, 0x290, v0
	v_lshrrev_b32_e32 v3, 16, v1
	v_mul_lo_u16_e32 v1, 0x64, v3
	v_sub_u16_e32 v11, v0, v1
	s_waitcnt lgkmcnt(0)
	s_mul_i32 s5, s5, s27
	s_mul_hi_u32 s6, s4, s27
	s_mul_i32 s4, s4, s27
	s_add_i32 s5, s6, s5
	s_add_u32 s6, s4, s41
	s_addc_u32 s7, s5, s40
	s_add_u32 s0, s28, s0
	s_addc_u32 s1, s29, s1
	s_load_dwordx2 s[0:1], s[0:1], 0x0
	s_add_i32 s4, s19, 4
	s_cmp_le_u32 s4, s33
	s_cselect_b64 s[4:5], -1, 0
	s_mov_b64 s[10:11], -1
	s_and_b64 vcc, exec, s[4:5]
	s_cbranch_vccnz .LBB0_14
; %bb.10:
	v_add_u32_e32 v4, s19, v3
	v_cmp_gt_u32_e32 vcc, s33, v4
	s_and_saveexec_b64 s[10:11], vcc
	s_cbranch_execz .LBB0_13
; %bb.11:
	v_mad_u64_u32 v[1:2], s[12:13], s24, v11, 0
	s_lshl_b64 s[12:13], s[6:7], 3
	s_add_u32 s12, s20, s12
	v_mad_u64_u32 v[5:6], s[14:15], s25, v11, v[2:3]
	s_addc_u32 s13, s21, s13
	v_mov_b32_e32 v6, s13
	v_mov_b32_e32 v2, v5
	v_lshlrev_b64 v[1:2], 3, v[1:2]
	v_add_co_u32_e32 v5, vcc, s12, v1
	v_lshlrev_b32_e32 v1, 3, v3
	v_addc_co_u32_e32 v6, vcc, v6, v2, vcc
	v_lshl_or_b32 v2, v11, 5, v1
	v_mul_lo_u32 v1, v3, s26
	v_add_u32_e32 v7, 0, v2
	s_mov_b64 s[12:13], 0
	v_mov_b32_e32 v2, 0
.LBB0_12:                               ; =>This Inner Loop Header: Depth=1
	v_lshlrev_b64 v[8:9], 3, v[1:2]
	v_add_u32_e32 v4, 1, v4
	v_add_co_u32_e32 v8, vcc, v5, v8
	v_addc_co_u32_e32 v9, vcc, v6, v9, vcc
	global_load_dwordx2 v[8:9], v[8:9], off
	v_cmp_le_u32_e32 vcc, s33, v4
	v_add_u32_e32 v1, s26, v1
	s_or_b64 s[12:13], vcc, s[12:13]
	s_waitcnt vmcnt(0)
	ds_write_b64 v7, v[8:9]
	v_add_u32_e32 v7, 8, v7
	s_andn2_b64 exec, exec, s[12:13]
	s_cbranch_execnz .LBB0_12
.LBB0_13:
	s_or_b64 exec, exec, s[10:11]
	s_mov_b64 s[10:11], 0
.LBB0_14:
	s_andn2_b64 vcc, exec, s[10:11]
	s_cbranch_vccnz .LBB0_16
; %bb.15:
	v_mad_u64_u32 v[1:2], s[10:11], s24, v11, 0
	v_mul_lo_u32 v4, s26, v3
	s_lshl_b64 s[6:7], s[6:7], 3
	v_mad_u64_u32 v[6:7], s[10:11], s25, v11, v[2:3]
	s_add_u32 s6, s20, s6
	s_addc_u32 s7, s21, s7
	v_mov_b32_e32 v2, v6
	v_lshlrev_b64 v[1:2], 3, v[1:2]
	v_mov_b32_e32 v5, 0
	v_mov_b32_e32 v6, s7
	v_add_co_u32_e32 v10, vcc, s6, v1
	v_addc_co_u32_e32 v12, vcc, v6, v2, vcc
	v_lshlrev_b64 v[1:2], 3, v[4:5]
	v_add_u32_e32 v4, s26, v4
	v_add_co_u32_e32 v1, vcc, v10, v1
	v_lshlrev_b64 v[6:7], 3, v[4:5]
	v_addc_co_u32_e32 v2, vcc, v12, v2, vcc
	v_add_u32_e32 v4, s26, v4
	v_add_co_u32_e32 v6, vcc, v10, v6
	v_lshlrev_b64 v[8:9], 3, v[4:5]
	v_addc_co_u32_e32 v7, vcc, v12, v7, vcc
	;; [unrolled: 4-line block ×3, first 2 shown]
	v_add_co_u32_e32 v4, vcc, v10, v4
	v_addc_co_u32_e32 v5, vcc, v12, v5, vcc
	global_load_dwordx2 v[12:13], v[1:2], off
	global_load_dwordx2 v[14:15], v[6:7], off
	;; [unrolled: 1-line block ×4, first 2 shown]
	v_lshlrev_b32_e32 v1, 5, v11
	v_lshlrev_b32_e32 v2, 3, v3
	v_add3_u32 v1, 0, v1, v2
	s_waitcnt vmcnt(2)
	ds_write2_b64 v1, v[12:13], v[14:15] offset1:1
	s_waitcnt vmcnt(0)
	ds_write2_b64 v1, v[16:17], v[18:19] offset0:2 offset1:3
.LBB0_16:
	v_lshrrev_b32_e32 v14, 2, v0
	v_and_b32_e32 v12, 3, v0
	v_lshl_add_u32 v15, v14, 5, 0
	v_lshl_add_u32 v13, v12, 3, v15
	s_waitcnt lgkmcnt(0)
	s_barrier
	ds_read2_b64 v[16:19], v13 offset1:80
	ds_read2_b64 v[20:23], v13 offset0:160 offset1:240
	ds_read_b64 v[24:25], v13 offset:2560
	s_movk_i32 s6, 0x50
	v_cmp_gt_u32_e32 vcc, s6, v0
	s_waitcnt lgkmcnt(2)
	v_add_f32_e32 v1, v16, v18
	s_waitcnt lgkmcnt(1)
	v_add_f32_e32 v1, v1, v20
	v_add_f32_e32 v2, v1, v22
	v_add_f32_e32 v1, v20, v22
	v_fma_f32 v3, -0.5, v1, v16
	s_waitcnt lgkmcnt(0)
	v_sub_f32_e32 v4, v19, v25
	v_mov_b32_e32 v5, v3
	v_fmac_f32_e32 v5, 0x3f737871, v4
	v_sub_f32_e32 v6, v21, v23
	v_sub_f32_e32 v1, v18, v20
	;; [unrolled: 1-line block ×3, first 2 shown]
	v_fmac_f32_e32 v3, 0xbf737871, v4
	v_fmac_f32_e32 v5, 0x3f167918, v6
	v_add_f32_e32 v1, v1, v7
	v_fmac_f32_e32 v3, 0xbf167918, v6
	v_fmac_f32_e32 v5, 0x3e9e377a, v1
	;; [unrolled: 1-line block ×3, first 2 shown]
	v_add_f32_e32 v1, v18, v24
	v_add_f32_e32 v9, v2, v24
	;; [unrolled: 1-line block ×3, first 2 shown]
	v_fma_f32 v1, -0.5, v1, v16
	v_sub_f32_e32 v7, v20, v18
	v_sub_f32_e32 v8, v22, v24
	v_add_f32_e32 v2, v2, v21
	v_add_f32_e32 v8, v7, v8
	v_mov_b32_e32 v7, v1
	v_add_f32_e32 v2, v2, v23
	v_fmac_f32_e32 v7, 0xbf737871, v6
	v_fmac_f32_e32 v1, 0x3f737871, v6
	v_add_f32_e32 v10, v2, v25
	v_add_f32_e32 v2, v21, v23
	v_fmac_f32_e32 v7, 0x3f167918, v4
	v_fmac_f32_e32 v1, 0xbf167918, v4
	v_fma_f32 v4, -0.5, v2, v17
	v_sub_f32_e32 v16, v18, v24
	v_mov_b32_e32 v6, v4
	v_fmac_f32_e32 v7, 0x3e9e377a, v8
	v_fmac_f32_e32 v1, 0x3e9e377a, v8
	;; [unrolled: 1-line block ×3, first 2 shown]
	v_sub_f32_e32 v2, v19, v21
	v_sub_f32_e32 v8, v25, v23
	;; [unrolled: 1-line block ×3, first 2 shown]
	v_fmac_f32_e32 v4, 0x3f737871, v16
	v_add_f32_e32 v2, v2, v8
	v_fmac_f32_e32 v6, 0xbf167918, v18
	v_fmac_f32_e32 v4, 0x3f167918, v18
	;; [unrolled: 1-line block ×4, first 2 shown]
	v_add_f32_e32 v2, v19, v25
	v_fma_f32 v2, -0.5, v2, v17
	v_mov_b32_e32 v8, v2
	v_fmac_f32_e32 v8, 0x3f737871, v18
	v_sub_f32_e32 v17, v21, v19
	v_sub_f32_e32 v19, v23, v25
	v_fmac_f32_e32 v2, 0xbf737871, v18
	v_fmac_f32_e32 v8, 0xbf167918, v16
	v_add_f32_e32 v17, v17, v19
	v_fmac_f32_e32 v2, 0x3f167918, v16
	v_fmac_f32_e32 v8, 0x3e9e377a, v17
	;; [unrolled: 1-line block ×3, first 2 shown]
	v_lshlrev_b32_e32 v16, 3, v12
	s_barrier
	s_and_saveexec_b64 s[6:7], vcc
	s_cbranch_execz .LBB0_18
; %bb.17:
	v_lshlrev_b32_e32 v17, 7, v14
	v_add3_u32 v15, v15, v17, v16
	ds_write2_b64 v15, v[9:10], v[5:6] offset1:4
	ds_write2_b64 v15, v[7:8], v[1:2] offset0:8 offset1:12
	ds_write_b64 v15, v[3:4] offset:128
.LBB0_18:
	s_or_b64 exec, exec, s[6:7]
	s_waitcnt lgkmcnt(0)
	s_barrier
	s_and_saveexec_b64 s[6:7], vcc
	s_cbranch_execz .LBB0_20
; %bb.19:
	v_add_u32_e32 v1, 0x400, v13
	ds_read2_b32 v[9:10], v13 offset1:1
	ds_read2_b64 v[5:8], v13 offset0:80 offset1:160
	ds_read2_b64 v[1:4], v1 offset0:112 offset1:192
.LBB0_20:
	s_or_b64 exec, exec, s[6:7]
	s_waitcnt lgkmcnt(0)
	s_barrier
	s_and_saveexec_b64 s[6:7], vcc
	s_cbranch_execz .LBB0_22
; %bb.21:
	s_mov_b32 s10, 0x33333334
	v_mul_hi_u32 v15, v14, s10
	v_mov_b32_e32 v26, 25
	v_mul_u32_u24_e32 v15, 5, v15
	v_sub_u32_e32 v15, v14, v15
	v_lshlrev_b32_e32 v25, 5, v15
	global_load_dwordx4 v[17:20], v25, s[8:9]
	global_load_dwordx4 v[21:24], v25, s[8:9] offset:16
	v_lshrrev_b16_e32 v25, 2, v0
	v_mul_lo_u16_e32 v25, 52, v25
	v_mul_lo_u16_sdwa v25, v25, v26 dst_sel:DWORD dst_unused:UNUSED_PAD src0_sel:BYTE_1 src1_sel:DWORD
	v_add_lshl_u32 v15, v15, v25, 5
	v_add3_u32 v15, 0, v15, v16
	s_waitcnt vmcnt(1)
	v_mul_f32_e32 v16, v7, v20
	v_mul_f32_e32 v25, v5, v18
	;; [unrolled: 1-line block ×3, first 2 shown]
	s_waitcnt vmcnt(0)
	v_mul_f32_e32 v26, v1, v22
	v_mul_f32_e32 v27, v3, v24
	;; [unrolled: 1-line block ×4, first 2 shown]
	v_fmac_f32_e32 v25, v6, v17
	v_fma_f32 v6, v7, v19, -v20
	v_mul_f32_e32 v7, v4, v24
	v_fmac_f32_e32 v16, v8, v19
	v_fma_f32 v5, v5, v17, -v18
	v_fmac_f32_e32 v26, v2, v21
	v_fmac_f32_e32 v27, v4, v23
	v_fma_f32 v17, v1, v21, -v22
	v_fma_f32 v18, v3, v23, -v7
	v_sub_f32_e32 v1, v16, v25
	v_sub_f32_e32 v2, v26, v27
	v_add_f32_e32 v3, v25, v27
	v_sub_f32_e32 v4, v6, v5
	v_sub_f32_e32 v7, v17, v18
	v_add_f32_e32 v28, v16, v26
	v_add_f32_e32 v32, v6, v17
	;; [unrolled: 1-line block ×5, first 2 shown]
	v_fma_f32 v2, -0.5, v3, v10
	v_fma_f32 v4, -0.5, v28, v10
	;; [unrolled: 1-line block ×3, first 2 shown]
	v_sub_f32_e32 v20, v5, v18
	v_sub_f32_e32 v21, v25, v27
	;; [unrolled: 1-line block ×4, first 2 shown]
	v_add_f32_e32 v25, v10, v25
	v_add_f32_e32 v5, v9, v5
	v_fma_f32 v1, -0.5, v8, v9
	v_mov_b32_e32 v8, v4
	v_mov_b32_e32 v7, v3
	v_sub_f32_e32 v19, v6, v17
	v_sub_f32_e32 v22, v16, v26
	;; [unrolled: 1-line block ×4, first 2 shown]
	v_add_f32_e32 v9, v25, v16
	v_add_f32_e32 v10, v5, v6
	v_mov_b32_e32 v6, v2
	v_mov_b32_e32 v5, v1
	v_fmac_f32_e32 v8, 0xbf737871, v20
	v_fmac_f32_e32 v7, 0x3f737871, v21
	v_add_f32_e32 v23, v23, v24
	v_add_f32_e32 v24, v29, v30
	;; [unrolled: 1-line block ×4, first 2 shown]
	v_fmac_f32_e32 v2, 0xbf737871, v19
	v_fmac_f32_e32 v4, 0x3f737871, v20
	;; [unrolled: 1-line block ×8, first 2 shown]
	v_add_f32_e32 v10, v9, v27
	v_add_f32_e32 v9, v16, v18
	v_fmac_f32_e32 v2, 0x3f167918, v20
	v_fmac_f32_e32 v4, 0x3f167918, v19
	v_fmac_f32_e32 v1, 0xbf167918, v21
	v_fmac_f32_e32 v3, 0xbf167918, v22
	v_fmac_f32_e32 v6, 0xbf167918, v20
	v_fmac_f32_e32 v5, 0x3f167918, v21
	v_fmac_f32_e32 v8, 0x3e9e377a, v23
	v_fmac_f32_e32 v7, 0x3e9e377a, v24
	v_fmac_f32_e32 v2, 0x3e9e377a, v31
	v_fmac_f32_e32 v4, 0x3e9e377a, v23
	v_fmac_f32_e32 v1, 0x3e9e377a, v33
	v_fmac_f32_e32 v3, 0x3e9e377a, v24
	v_fmac_f32_e32 v6, 0x3e9e377a, v31
	v_fmac_f32_e32 v5, 0x3e9e377a, v33
	ds_write2_b64 v15, v[9:10], v[7:8] offset1:20
	ds_write2_b64 v15, v[5:6], v[1:2] offset0:40 offset1:60
	ds_write_b64 v15, v[3:4] offset:640
.LBB0_22:
	s_or_b64 exec, exec, s[6:7]
	v_or_b32_e32 v1, s19, v12
	v_cmp_gt_u32_e32 vcc, s33, v1
	s_or_b64 s[4:5], s[4:5], vcc
	s_waitcnt lgkmcnt(0)
	s_barrier
	s_and_saveexec_b64 s[6:7], s[4:5]
	s_cbranch_execz .LBB0_24
; %bb.23:
	s_mov_b32 s4, 0xa3d70a4
	v_mul_hi_u32 v1, v14, s4
	v_mad_u64_u32 v[17:18], s[4:5], s16, v12, 0
	s_mul_i32 s1, s1, s27
	v_mul_u32_u24_e32 v1, 25, v1
	v_sub_u32_e32 v19, v14, v1
	v_mul_u32_u24_e32 v1, 3, v19
	v_lshlrev_b32_e32 v5, 3, v1
	global_load_dwordx4 v[1:4], v5, s[8:9] offset:160
	global_load_dwordx2 v[9:10], v5, s[8:9] offset:176
	s_mul_hi_u32 s6, s0, s27
	s_mul_i32 s0, s0, s27
	s_add_i32 s1, s6, s1
	s_lshl_b64 s[0:1], s[0:1], 3
	v_sub_u32_e32 v21, v0, v11
	s_add_u32 s5, s22, s0
	v_mov_b32_e32 v0, v18
	s_addc_u32 s6, s23, s1
	s_lshl_b64 s[0:1], s[2:3], 3
	s_add_u32 s0, s5, s0
	s_addc_u32 s1, s6, s1
	v_mov_b32_e32 v20, 0
	s_mul_i32 s4, s18, 25
	ds_read2_b64 v[5:8], v13 offset1:100
	v_add_u32_e32 v13, 0x400, v13
	ds_read2_b64 v[13:16], v13 offset0:72 offset1:172
	s_waitcnt vmcnt(1)
	v_mad_u64_u32 v[11:12], s[2:3], s17, v12, v[0:1]
	v_add_u32_e32 v0, v21, v19
	v_mul_lo_u32 v19, v0, s18
	v_mov_b32_e32 v18, v11
	v_lshlrev_b64 v[11:12], 3, v[17:18]
	v_mov_b32_e32 v21, s1
	v_add_co_u32_e32 v0, vcc, s0, v11
	v_addc_co_u32_e32 v23, vcc, v21, v12, vcc
	v_lshlrev_b64 v[11:12], 3, v[19:20]
	v_add_u32_e32 v19, s4, v19
	v_lshlrev_b64 v[17:18], 3, v[19:20]
	v_add_co_u32_e32 v11, vcc, v0, v11
	v_add_u32_e32 v19, s4, v19
	v_addc_co_u32_e32 v12, vcc, v23, v12, vcc
	v_lshlrev_b64 v[21:22], 3, v[19:20]
	v_add_co_u32_e32 v17, vcc, v0, v17
	v_add_u32_e32 v19, s4, v19
	v_addc_co_u32_e32 v18, vcc, v23, v18, vcc
	v_lshlrev_b64 v[19:20], 3, v[19:20]
	v_add_co_u32_e32 v21, vcc, v0, v21
	v_addc_co_u32_e32 v22, vcc, v23, v22, vcc
	v_add_co_u32_e32 v19, vcc, v0, v19
	v_addc_co_u32_e32 v20, vcc, v23, v20, vcc
	s_waitcnt lgkmcnt(0)
	v_mul_f32_e32 v0, v4, v13
	v_mul_f32_e32 v23, v2, v8
	s_waitcnt vmcnt(0)
	v_mul_f32_e32 v24, v10, v16
	v_mul_f32_e32 v4, v4, v14
	;; [unrolled: 1-line block ×4, first 2 shown]
	v_fmac_f32_e32 v0, v3, v14
	v_fma_f32 v7, v1, v7, -v23
	v_fma_f32 v14, v9, v15, -v24
	;; [unrolled: 1-line block ×3, first 2 shown]
	v_fmac_f32_e32 v2, v1, v8
	v_fmac_f32_e32 v10, v9, v16
	v_sub_f32_e32 v4, v6, v0
	v_sub_f32_e32 v8, v7, v14
	;; [unrolled: 1-line block ×4, first 2 shown]
	v_add_f32_e32 v1, v4, v8
	v_fma_f32 v6, v6, 2.0, -v4
	v_fma_f32 v10, v2, 2.0, -v3
	;; [unrolled: 1-line block ×4, first 2 shown]
	v_sub_f32_e32 v0, v9, v3
	v_fma_f32 v3, v4, 2.0, -v1
	v_sub_f32_e32 v5, v6, v10
	v_sub_f32_e32 v4, v13, v7
	v_fma_f32 v7, v6, 2.0, -v5
	v_fma_f32 v6, v13, 2.0, -v4
	;; [unrolled: 1-line block ×3, first 2 shown]
	global_store_dwordx2 v[11:12], v[6:7], off
	global_store_dwordx2 v[17:18], v[2:3], off
	;; [unrolled: 1-line block ×4, first 2 shown]
.LBB0_24:
	s_endpgm
	.section	.rodata,"a",@progbits
	.p2align	6, 0x0
	.amdhsa_kernel fft_rtc_fwd_len100_factors_5_5_4_wgs_100_tpt_25_sp_op_CI_CI_sbrc_unaligned_dirReg
		.amdhsa_group_segment_fixed_size 0
		.amdhsa_private_segment_fixed_size 0
		.amdhsa_kernarg_size 104
		.amdhsa_user_sgpr_count 6
		.amdhsa_user_sgpr_private_segment_buffer 1
		.amdhsa_user_sgpr_dispatch_ptr 0
		.amdhsa_user_sgpr_queue_ptr 0
		.amdhsa_user_sgpr_kernarg_segment_ptr 1
		.amdhsa_user_sgpr_dispatch_id 0
		.amdhsa_user_sgpr_flat_scratch_init 0
		.amdhsa_user_sgpr_private_segment_size 0
		.amdhsa_uses_dynamic_stack 0
		.amdhsa_system_sgpr_private_segment_wavefront_offset 0
		.amdhsa_system_sgpr_workgroup_id_x 1
		.amdhsa_system_sgpr_workgroup_id_y 0
		.amdhsa_system_sgpr_workgroup_id_z 0
		.amdhsa_system_sgpr_workgroup_info 0
		.amdhsa_system_vgpr_workitem_id 0
		.amdhsa_next_free_vgpr 34
		.amdhsa_next_free_sgpr 45
		.amdhsa_reserve_vcc 1
		.amdhsa_reserve_flat_scratch 0
		.amdhsa_float_round_mode_32 0
		.amdhsa_float_round_mode_16_64 0
		.amdhsa_float_denorm_mode_32 3
		.amdhsa_float_denorm_mode_16_64 3
		.amdhsa_dx10_clamp 1
		.amdhsa_ieee_mode 1
		.amdhsa_fp16_overflow 0
		.amdhsa_exception_fp_ieee_invalid_op 0
		.amdhsa_exception_fp_denorm_src 0
		.amdhsa_exception_fp_ieee_div_zero 0
		.amdhsa_exception_fp_ieee_overflow 0
		.amdhsa_exception_fp_ieee_underflow 0
		.amdhsa_exception_fp_ieee_inexact 0
		.amdhsa_exception_int_div_zero 0
	.end_amdhsa_kernel
	.text
.Lfunc_end0:
	.size	fft_rtc_fwd_len100_factors_5_5_4_wgs_100_tpt_25_sp_op_CI_CI_sbrc_unaligned_dirReg, .Lfunc_end0-fft_rtc_fwd_len100_factors_5_5_4_wgs_100_tpt_25_sp_op_CI_CI_sbrc_unaligned_dirReg
                                        ; -- End function
	.section	.AMDGPU.csdata,"",@progbits
; Kernel info:
; codeLenInByte = 3144
; NumSgprs: 49
; NumVgprs: 34
; ScratchSize: 0
; MemoryBound: 0
; FloatMode: 240
; IeeeMode: 1
; LDSByteSize: 0 bytes/workgroup (compile time only)
; SGPRBlocks: 6
; VGPRBlocks: 8
; NumSGPRsForWavesPerEU: 49
; NumVGPRsForWavesPerEU: 34
; Occupancy: 7
; WaveLimiterHint : 1
; COMPUTE_PGM_RSRC2:SCRATCH_EN: 0
; COMPUTE_PGM_RSRC2:USER_SGPR: 6
; COMPUTE_PGM_RSRC2:TRAP_HANDLER: 0
; COMPUTE_PGM_RSRC2:TGID_X_EN: 1
; COMPUTE_PGM_RSRC2:TGID_Y_EN: 0
; COMPUTE_PGM_RSRC2:TGID_Z_EN: 0
; COMPUTE_PGM_RSRC2:TIDIG_COMP_CNT: 0
	.type	__hip_cuid_43274e840befcb7f,@object ; @__hip_cuid_43274e840befcb7f
	.section	.bss,"aw",@nobits
	.globl	__hip_cuid_43274e840befcb7f
__hip_cuid_43274e840befcb7f:
	.byte	0                               ; 0x0
	.size	__hip_cuid_43274e840befcb7f, 1

	.ident	"AMD clang version 19.0.0git (https://github.com/RadeonOpenCompute/llvm-project roc-6.4.0 25133 c7fe45cf4b819c5991fe208aaa96edf142730f1d)"
	.section	".note.GNU-stack","",@progbits
	.addrsig
	.addrsig_sym __hip_cuid_43274e840befcb7f
	.amdgpu_metadata
---
amdhsa.kernels:
  - .args:
      - .actual_access:  read_only
        .address_space:  global
        .offset:         0
        .size:           8
        .value_kind:     global_buffer
      - .offset:         8
        .size:           8
        .value_kind:     by_value
      - .actual_access:  read_only
        .address_space:  global
        .offset:         16
        .size:           8
        .value_kind:     global_buffer
      - .actual_access:  read_only
        .address_space:  global
        .offset:         24
        .size:           8
        .value_kind:     global_buffer
      - .actual_access:  read_only
        .address_space:  global
        .offset:         32
        .size:           8
        .value_kind:     global_buffer
      - .offset:         40
        .size:           8
        .value_kind:     by_value
      - .actual_access:  read_only
        .address_space:  global
        .offset:         48
        .size:           8
        .value_kind:     global_buffer
      - .actual_access:  read_only
        .address_space:  global
        .offset:         56
        .size:           8
        .value_kind:     global_buffer
      - .offset:         64
        .size:           4
        .value_kind:     by_value
      - .actual_access:  read_only
        .address_space:  global
        .offset:         72
        .size:           8
        .value_kind:     global_buffer
      - .actual_access:  read_only
        .address_space:  global
        .offset:         80
        .size:           8
        .value_kind:     global_buffer
      - .actual_access:  read_only
        .address_space:  global
        .offset:         88
        .size:           8
        .value_kind:     global_buffer
      - .actual_access:  write_only
        .address_space:  global
        .offset:         96
        .size:           8
        .value_kind:     global_buffer
    .group_segment_fixed_size: 0
    .kernarg_segment_align: 8
    .kernarg_segment_size: 104
    .language:       OpenCL C
    .language_version:
      - 2
      - 0
    .max_flat_workgroup_size: 100
    .name:           fft_rtc_fwd_len100_factors_5_5_4_wgs_100_tpt_25_sp_op_CI_CI_sbrc_unaligned_dirReg
    .private_segment_fixed_size: 0
    .sgpr_count:     49
    .sgpr_spill_count: 0
    .symbol:         fft_rtc_fwd_len100_factors_5_5_4_wgs_100_tpt_25_sp_op_CI_CI_sbrc_unaligned_dirReg.kd
    .uniform_work_group_size: 1
    .uses_dynamic_stack: false
    .vgpr_count:     34
    .vgpr_spill_count: 0
    .wavefront_size: 64
amdhsa.target:   amdgcn-amd-amdhsa--gfx906
amdhsa.version:
  - 1
  - 2
...

	.end_amdgpu_metadata
